;; amdgpu-corpus repo=ROCm/bitsandbytes kind=harvested arch=n/a opt=n/a
	.text
	.amdgcn_target "amdgcn-amd-amdhsa--gfx1100"
	.amdhsa_code_object_version 6
	.protected	_Z21kOptimizer32bit1StateI12hip_bfloat16Li5EEvPT_S2_PfS3_ffffffiffbi ; -- Begin function _Z21kOptimizer32bit1StateI12hip_bfloat16Li5EEvPT_S2_PfS3_ffffffiffbi
	.globl	_Z21kOptimizer32bit1StateI12hip_bfloat16Li5EEvPT_S2_PfS3_ffffffiffbi
	.p2align	8
	.type	_Z21kOptimizer32bit1StateI12hip_bfloat16Li5EEvPT_S2_PfS3_ffffffiffbi,@function
_Z21kOptimizer32bit1StateI12hip_bfloat16Li5EEvPT_S2_PfS3_ffffffiffbi: ; @_Z21kOptimizer32bit1StateI12hip_bfloat16Li5EEvPT_S2_PfS3_ffffffiffbi
; %bb.0:
	s_clause 0x3
	s_load_b128 s[16:19], s[0:1], 0x20
	s_load_b256 s[4:11], s[0:1], 0x0
	s_load_b64 s[12:13], s[0:1], 0x30
	s_load_b32 s3, s[0:1], 0x5c
	v_mov_b32_e32 v12, 1.0
	s_waitcnt lgkmcnt(0)
	v_cmp_ngt_f32_e64 s2, s16, 0
	s_delay_alu instid0(VALU_DEP_1)
	s_and_b32 vcc_lo, exec_lo, s2
	s_cbranch_vccnz .LBB58_3
; %bb.1:
	s_load_b32 s2, s[10:11], 0x0
	v_mov_b32_e32 v12, 1.0
	s_waitcnt lgkmcnt(0)
	v_mul_f32_e64 v1, 0x4f800000, s2
	v_cmp_gt_f32_e64 vcc_lo, 0xf800000, s2
	s_delay_alu instid0(VALU_DEP_2) | instskip(NEXT) | instid1(VALU_DEP_1)
	v_cndmask_b32_e32 v2, s2, v1, vcc_lo
	v_sqrt_f32_e32 v1, v2
	s_waitcnt_depctr 0xfff
	v_add_nc_u32_e32 v3, -1, v1
	v_add_nc_u32_e32 v4, 1, v1
	s_delay_alu instid0(VALU_DEP_2) | instskip(NEXT) | instid1(VALU_DEP_2)
	v_fma_f32 v5, -v3, v1, v2
	v_fma_f32 v6, -v4, v1, v2
	s_delay_alu instid0(VALU_DEP_2) | instskip(NEXT) | instid1(VALU_DEP_1)
	v_cmp_ge_f32_e64 s2, 0, v5
	v_cndmask_b32_e64 v1, v1, v3, s2
	s_delay_alu instid0(VALU_DEP_3) | instskip(NEXT) | instid1(VALU_DEP_1)
	v_cmp_lt_f32_e64 s2, 0, v6
	v_cndmask_b32_e64 v1, v1, v4, s2
	s_delay_alu instid0(VALU_DEP_1) | instskip(NEXT) | instid1(VALU_DEP_1)
	v_dual_mov_b32 v4, s12 :: v_dual_mul_f32 v3, 0x37800000, v1
	v_cndmask_b32_e32 v3, v1, v3, vcc_lo
	v_cmp_class_f32_e64 vcc_lo, v2, 0x260
	s_delay_alu instid0(VALU_DEP_3) | instskip(NEXT) | instid1(VALU_DEP_3)
	v_fma_f32 v1, s17, s16, v4
	v_cndmask_b32_e32 v2, v3, v2, vcc_lo
	s_delay_alu instid0(VALU_DEP_1)
	v_cmp_ngt_f32_e32 vcc_lo, v2, v1
	s_cbranch_vccnz .LBB58_3
; %bb.2:
	v_div_scale_f32 v3, null, v2, v2, v1
	s_delay_alu instid0(VALU_DEP_1) | instskip(SKIP_2) | instid1(VALU_DEP_1)
	v_rcp_f32_e32 v4, v3
	s_waitcnt_depctr 0xfff
	v_fma_f32 v5, -v3, v4, 1.0
	v_fmac_f32_e32 v4, v5, v4
	v_div_scale_f32 v5, vcc_lo, v1, v2, v1
	s_delay_alu instid0(VALU_DEP_1) | instskip(NEXT) | instid1(VALU_DEP_1)
	v_mul_f32_e32 v6, v5, v4
	v_fma_f32 v7, -v3, v6, v5
	s_delay_alu instid0(VALU_DEP_1) | instskip(NEXT) | instid1(VALU_DEP_1)
	v_fmac_f32_e32 v6, v7, v4
	v_fma_f32 v3, -v3, v6, v5
	s_delay_alu instid0(VALU_DEP_1) | instskip(NEXT) | instid1(VALU_DEP_1)
	v_div_fmas_f32 v3, v3, v4, v6
	v_div_fixup_f32 v12, v3, v2, v1
.LBB58_3:
	s_load_b128 s[20:23], s[0:1], 0x3c
	s_waitcnt lgkmcnt(0)
	s_ashr_i32 s2, s23, 31
	s_and_b32 s10, s23, 0xfff
	s_lshr_b32 s2, s2, 20
	s_delay_alu instid0(SALU_CYCLE_1) | instskip(NEXT) | instid1(SALU_CYCLE_1)
	s_add_i32 s2, s23, s2
	s_and_b32 s2, s2, 0xfffff000
	s_cmp_lg_u32 s10, 0
	s_cselect_b32 s10, -1, 0
	s_and_b32 s3, 0xffff, s3
	v_cndmask_b32_e64 v1, 0, 1, s10
	s_mul_i32 s15, s15, s3
	s_delay_alu instid0(VALU_DEP_1) | instskip(NEXT) | instid1(VALU_DEP_1)
	v_readfirstlane_b32 s10, v1
	s_lshl_b32 s12, s10, 12
	s_lshl_b32 s10, s15, 2
	s_add_i32 s12, s12, s2
	s_delay_alu instid0(SALU_CYCLE_1)
	s_cmp_ge_u32 s10, s12
	s_cbranch_scc1 .LBB58_110
; %bb.4:
	v_lshlrev_b32_e32 v1, 2, v0
	v_mbcnt_lo_u32_b32 v2, -1, 0
	s_load_b32 s0, s[0:1], 0x50
	s_bitcmp1_b32 s22, 0
	v_sub_f32_e64 v33, 1.0, s18
	v_and_b32_e32 v1, 0xf80, v1
	v_lshlrev_b32_e32 v3, 1, v2
	v_and_or_b32 v0, 0x3e0, v0, v2
	v_sub_f32_e64 v34, 1.0, s19
	s_cselect_b32 s1, -1, 0
	v_or_b32_e32 v13, v2, v1
	v_add_co_u32 v4, s2, s4, v3
	v_lshlrev_b32_e32 v6, 1, v1
	v_add_co_ci_u32_e64 v5, null, s5, 0, s2
	s_delay_alu instid0(VALU_DEP_4) | instskip(SKIP_1) | instid1(VALU_DEP_4)
	v_or_b32_e32 v14, 32, v13
	v_or_b32_e32 v16, 0x60, v13
	v_add_co_u32 v17, vcc_lo, v4, v6
	v_lshlrev_b32_e32 v2, 2, v2
	s_delay_alu instid0(VALU_DEP_4) | instskip(SKIP_3) | instid1(VALU_DEP_4)
	v_lshrrev_b32_e32 v8, 5, v14
	v_or_b32_e32 v15, 64, v13
	v_add_co_ci_u32_e32 v18, vcc_lo, 0, v5, vcc_lo
	v_lshrrev_b32_e32 v5, 5, v16
	v_and_b32_e32 v9, 0x7c, v8
	v_lshrrev_b32_e32 v7, 5, v1
	v_lshlrev_b32_e32 v1, 2, v1
	v_add_co_u32 v2, s2, s8, v2
	v_lshrrev_b32_e32 v4, 5, v15
	v_and_b32_e32 v10, 0x7e, v5
	v_add_lshl_u32 v20, v9, v14, 1
	v_bfe_u32 v9, v0, 3, 27
	v_add_co_ci_u32_e64 v11, null, s9, 0, s2
	v_add_co_u32 v24, vcc_lo, v2, v1
	v_add_co_u32 v1, s2, s6, v3
	v_add_nc_u32_e32 v7, v7, v13
	v_add_nc_u32_e32 v4, v4, v15
	v_add_lshl_u32 v22, v10, v16, 1
	v_lshlrev_b32_e32 v0, 2, v0
	v_and_b32_e32 v10, 0x7e, v9
	v_add_co_ci_u32_e64 v2, null, s7, 0, s2
	v_add_co_ci_u32_e32 v25, vcc_lo, 0, v11, vcc_lo
	v_add_co_u32 v31, vcc_lo, v1, v6
	v_lshlrev_b32_e32 v19, 1, v7
	v_lshlrev_b32_e32 v21, 1, v4
	v_add_lshl_u32 v23, v10, v0, 1
	v_lshlrev_b32_e32 v26, 2, v7
	v_add_lshl_u32 v27, v8, v14, 2
	;; [unrolled: 2-line block ×3, first 2 shown]
	v_add_lshl_u32 v30, v9, v0, 2
	v_add_co_ci_u32_e32 v32, vcc_lo, 0, v2, vcc_lo
	v_cmp_gt_f32_e64 s6, s13, 0
	s_mov_b32 s11, 0
	s_waitcnt lgkmcnt(0)
	s_lshl_b32 s7, s0, 12
	s_sub_i32 s8, s23, s10
	s_xor_b32 s9, s1, -1
                                        ; implicit-def: $vgpr38
                                        ; implicit-def: $vgpr36
                                        ; implicit-def: $vgpr11
                                        ; implicit-def: $vgpr10
                                        ; implicit-def: $vgpr8
                                        ; implicit-def: $vgpr9
                                        ; implicit-def: $vgpr35
                                        ; implicit-def: $vgpr37
                                        ; implicit-def: $vgpr0_vgpr1_vgpr2_vgpr3
	s_branch .LBB58_6
.LBB58_5:                               ;   in Loop: Header=BB58_6 Depth=1
	s_or_b32 exec_lo, exec_lo, s0
	s_add_i32 s10, s10, s7
	s_sub_i32 s8, s8, s7
	s_cmp_ge_u32 s10, s12
	s_cbranch_scc1 .LBB58_110
.LBB58_6:                               ; =>This Inner Loop Header: Depth=1
	s_lshl_b64 s[4:5], s[10:11], 1
	s_min_u32 s3, s8, 0x1000
	v_add_co_u32 v4, vcc_lo, v17, s4
	v_add_co_ci_u32_e32 v5, vcc_lo, s5, v18, vcc_lo
	v_cmp_gt_u32_e64 s0, s3, v13
	s_waitcnt lgkmcnt(0)
	s_waitcnt_vscnt null, 0x0
	s_barrier
	buffer_gl0_inv
	s_and_saveexec_b32 s1, s0
	s_cbranch_execnz .LBB58_24
; %bb.7:                                ;   in Loop: Header=BB58_6 Depth=1
	s_or_b32 exec_lo, exec_lo, s1
	v_cmp_gt_u32_e64 s1, s3, v14
	s_delay_alu instid0(VALU_DEP_1)
	s_and_saveexec_b32 s2, s1
	s_cbranch_execnz .LBB58_25
.LBB58_8:                               ;   in Loop: Header=BB58_6 Depth=1
	s_or_b32 exec_lo, exec_lo, s2
	v_cmp_gt_u32_e64 s2, s3, v15
	s_delay_alu instid0(VALU_DEP_1)
	s_and_saveexec_b32 s14, s2
	s_cbranch_execnz .LBB58_26
.LBB58_9:                               ;   in Loop: Header=BB58_6 Depth=1
	s_or_b32 exec_lo, exec_lo, s14
	v_cmp_gt_u32_e64 s3, s3, v16
	s_delay_alu instid0(VALU_DEP_1)
	s_and_saveexec_b32 s14, s3
	s_cbranch_execz .LBB58_11
.LBB58_10:                              ;   in Loop: Header=BB58_6 Depth=1
	global_load_u16 v38, v[4:5], off offset:192
.LBB58_11:                              ;   in Loop: Header=BB58_6 Depth=1
	s_or_b32 exec_lo, exec_lo, s14
	s_waitcnt vmcnt(0)
	ds_store_b16 v19, v10
	ds_store_b16 v20, v11
	;; [unrolled: 1-line block ×4, first 2 shown]
	; wave barrier
	ds_load_b64 v[10:11], v23
	s_lshl_b64 s[14:15], s[10:11], 2
	s_waitcnt lgkmcnt(0)
	v_add_co_u32 v4, vcc_lo, v24, s14
	v_add_co_ci_u32_e32 v5, vcc_lo, s15, v25, vcc_lo
	s_barrier
	buffer_gl0_inv
	s_and_saveexec_b32 s14, s0
	s_cbranch_execnz .LBB58_27
; %bb.12:                               ;   in Loop: Header=BB58_6 Depth=1
	s_or_b32 exec_lo, exec_lo, s14
	s_and_saveexec_b32 s14, s1
	s_cbranch_execnz .LBB58_28
.LBB58_13:                              ;   in Loop: Header=BB58_6 Depth=1
	s_or_b32 exec_lo, exec_lo, s14
	s_and_saveexec_b32 s14, s2
	s_cbranch_execnz .LBB58_29
.LBB58_14:                              ;   in Loop: Header=BB58_6 Depth=1
	s_or_b32 exec_lo, exec_lo, s14
	s_and_saveexec_b32 s14, s3
	s_cbranch_execz .LBB58_16
.LBB58_15:                              ;   in Loop: Header=BB58_6 Depth=1
	global_load_b32 v3, v[4:5], off offset:384
.LBB58_16:                              ;   in Loop: Header=BB58_6 Depth=1
	s_or_b32 exec_lo, exec_lo, s14
	s_waitcnt vmcnt(0)
	ds_store_b32 v26, v0
	ds_store_b32 v27, v1
	;; [unrolled: 1-line block ×4, first 2 shown]
	; wave barrier
	ds_load_2addr_b32 v[2:3], v30 offset1:1
	ds_load_2addr_b32 v[0:1], v30 offset0:2 offset1:3
	v_add_co_u32 v6, vcc_lo, v31, s4
	v_add_co_ci_u32_e32 v7, vcc_lo, s5, v32, vcc_lo
	s_waitcnt lgkmcnt(0)
	s_barrier
	buffer_gl0_inv
	s_and_saveexec_b32 s4, s0
	s_cbranch_execnz .LBB58_30
; %bb.17:                               ;   in Loop: Header=BB58_6 Depth=1
	s_or_b32 exec_lo, exec_lo, s4
	s_and_saveexec_b32 s4, s1
	s_cbranch_execnz .LBB58_31
.LBB58_18:                              ;   in Loop: Header=BB58_6 Depth=1
	s_or_b32 exec_lo, exec_lo, s4
	s_and_saveexec_b32 s4, s2
	s_cbranch_execnz .LBB58_32
.LBB58_19:                              ;   in Loop: Header=BB58_6 Depth=1
	s_or_b32 exec_lo, exec_lo, s4
	s_and_saveexec_b32 s4, s3
	s_cbranch_execz .LBB58_21
.LBB58_20:                              ;   in Loop: Header=BB58_6 Depth=1
	global_load_u16 v8, v[6:7], off offset:192
.LBB58_21:                              ;   in Loop: Header=BB58_6 Depth=1
	s_or_b32 exec_lo, exec_lo, s4
	s_waitcnt vmcnt(0)
	ds_store_b16 v19, v37
	ds_store_b16 v20, v35
	;; [unrolled: 1-line block ×4, first 2 shown]
	; wave barrier
	ds_load_b64 v[8:9], v23
	v_lshlrev_b32_e32 v35, 16, v10
	s_delay_alu instid0(VALU_DEP_1) | instskip(NEXT) | instid1(VALU_DEP_1)
	v_mul_f32_e32 v35, s21, v35
	v_and_b32_e32 v36, 0x7f800000, v35
	s_delay_alu instid0(VALU_DEP_1) | instskip(SKIP_1) | instid1(SALU_CYCLE_1)
	v_cmp_ne_u32_e32 vcc_lo, 0x7f800000, v36
                                        ; implicit-def: $vgpr36
	s_and_saveexec_b32 s4, vcc_lo
	s_xor_b32 s4, exec_lo, s4
	s_cbranch_execnz .LBB58_33
; %bb.22:                               ;   in Loop: Header=BB58_6 Depth=1
	s_and_not1_saveexec_b32 s4, s4
	s_cbranch_execnz .LBB58_34
.LBB58_23:                              ;   in Loop: Header=BB58_6 Depth=1
	s_or_b32 exec_lo, exec_lo, s4
	s_waitcnt lgkmcnt(0)
	v_lshlrev_b32_e32 v37, 16, v8
	s_and_not1_b32 vcc_lo, exec_lo, s6
	s_cbranch_vccz .LBB58_35
	s_branch .LBB58_40
.LBB58_24:                              ;   in Loop: Header=BB58_6 Depth=1
	global_load_u16 v10, v[4:5], off
	s_or_b32 exec_lo, exec_lo, s1
	v_cmp_gt_u32_e64 s1, s3, v14
	s_delay_alu instid0(VALU_DEP_1)
	s_and_saveexec_b32 s2, s1
	s_cbranch_execz .LBB58_8
.LBB58_25:                              ;   in Loop: Header=BB58_6 Depth=1
	global_load_u16 v11, v[4:5], off offset:64
	s_or_b32 exec_lo, exec_lo, s2
	v_cmp_gt_u32_e64 s2, s3, v15
	s_delay_alu instid0(VALU_DEP_1)
	s_and_saveexec_b32 s14, s2
	s_cbranch_execz .LBB58_9
.LBB58_26:                              ;   in Loop: Header=BB58_6 Depth=1
	global_load_u16 v36, v[4:5], off offset:128
	s_or_b32 exec_lo, exec_lo, s14
	v_cmp_gt_u32_e64 s3, s3, v16
	s_delay_alu instid0(VALU_DEP_1)
	s_and_saveexec_b32 s14, s3
	s_cbranch_execnz .LBB58_10
	s_branch .LBB58_11
.LBB58_27:                              ;   in Loop: Header=BB58_6 Depth=1
	global_load_b32 v0, v[4:5], off
	s_or_b32 exec_lo, exec_lo, s14
	s_and_saveexec_b32 s14, s1
	s_cbranch_execz .LBB58_13
.LBB58_28:                              ;   in Loop: Header=BB58_6 Depth=1
	global_load_b32 v1, v[4:5], off offset:128
	s_or_b32 exec_lo, exec_lo, s14
	s_and_saveexec_b32 s14, s2
	s_cbranch_execz .LBB58_14
.LBB58_29:                              ;   in Loop: Header=BB58_6 Depth=1
	global_load_b32 v2, v[4:5], off offset:256
	s_or_b32 exec_lo, exec_lo, s14
	s_and_saveexec_b32 s14, s3
	s_cbranch_execnz .LBB58_15
	s_branch .LBB58_16
.LBB58_30:                              ;   in Loop: Header=BB58_6 Depth=1
	global_load_u16 v37, v[6:7], off
	s_or_b32 exec_lo, exec_lo, s4
	s_and_saveexec_b32 s4, s1
	s_cbranch_execz .LBB58_18
.LBB58_31:                              ;   in Loop: Header=BB58_6 Depth=1
	global_load_u16 v35, v[6:7], off offset:64
	s_or_b32 exec_lo, exec_lo, s4
	s_and_saveexec_b32 s4, s2
	s_cbranch_execz .LBB58_19
.LBB58_32:                              ;   in Loop: Header=BB58_6 Depth=1
	global_load_u16 v9, v[6:7], off offset:128
	s_or_b32 exec_lo, exec_lo, s4
	s_and_saveexec_b32 s4, s3
	s_cbranch_execnz .LBB58_20
	s_branch .LBB58_21
.LBB58_33:                              ;   in Loop: Header=BB58_6 Depth=1
	v_bfe_u32 v36, v35, 16, 1
	s_delay_alu instid0(VALU_DEP_1)
	v_add3_u32 v36, v35, v36, 0x7fff
                                        ; implicit-def: $vgpr35
	s_and_not1_saveexec_b32 s4, s4
	s_cbranch_execz .LBB58_23
.LBB58_34:                              ;   in Loop: Header=BB58_6 Depth=1
	v_and_b32_e32 v36, 0xffff, v35
	v_or_b32_e32 v37, 0x10000, v35
	s_delay_alu instid0(VALU_DEP_2) | instskip(NEXT) | instid1(VALU_DEP_2)
	v_cmp_eq_u32_e32 vcc_lo, 0, v36
	v_cndmask_b32_e32 v36, v37, v35, vcc_lo
	s_or_b32 exec_lo, exec_lo, s4
	s_waitcnt lgkmcnt(0)
	v_lshlrev_b32_e32 v37, 16, v8
	s_and_not1_b32 vcc_lo, exec_lo, s6
	s_cbranch_vccnz .LBB58_40
.LBB58_35:                              ;   in Loop: Header=BB58_6 Depth=1
	v_and_b32_e32 v35, 0xffff0000, v36
	s_delay_alu instid0(VALU_DEP_1) | instskip(NEXT) | instid1(VALU_DEP_1)
	v_fmac_f32_e32 v35, s13, v37
	v_and_b32_e32 v36, 0x7f800000, v35
	s_delay_alu instid0(VALU_DEP_1) | instskip(SKIP_1) | instid1(SALU_CYCLE_1)
	v_cmp_ne_u32_e32 vcc_lo, 0x7f800000, v36
                                        ; implicit-def: $vgpr36
	s_and_saveexec_b32 s4, vcc_lo
	s_xor_b32 s4, exec_lo, s4
; %bb.36:                               ;   in Loop: Header=BB58_6 Depth=1
	v_bfe_u32 v36, v35, 16, 1
	s_delay_alu instid0(VALU_DEP_1)
	v_add3_u32 v36, v35, v36, 0x7fff
                                        ; implicit-def: $vgpr35
; %bb.37:                               ;   in Loop: Header=BB58_6 Depth=1
	s_and_not1_saveexec_b32 s4, s4
; %bb.38:                               ;   in Loop: Header=BB58_6 Depth=1
	v_and_b32_e32 v36, 0xffff, v35
	v_or_b32_e32 v38, 0x10000, v35
	s_delay_alu instid0(VALU_DEP_2) | instskip(NEXT) | instid1(VALU_DEP_2)
	v_cmp_eq_u32_e32 vcc_lo, 0, v36
	v_cndmask_b32_e32 v36, v38, v35, vcc_lo
; %bb.39:                               ;   in Loop: Header=BB58_6 Depth=1
	s_or_b32 exec_lo, exec_lo, s4
.LBB58_40:                              ;   in Loop: Header=BB58_6 Depth=1
	v_and_b32_e32 v10, 0xffff0000, v10
	s_mov_b32 s4, exec_lo
                                        ; implicit-def: $vgpr38
	s_delay_alu instid0(VALU_DEP_1) | instskip(NEXT) | instid1(VALU_DEP_1)
	v_mul_f32_e32 v10, s21, v10
	v_and_b32_e32 v35, 0x7f800000, v10
	s_delay_alu instid0(VALU_DEP_1)
	v_cmpx_ne_u32_e32 0x7f800000, v35
	s_xor_b32 s4, exec_lo, s4
; %bb.41:                               ;   in Loop: Header=BB58_6 Depth=1
	v_bfe_u32 v35, v10, 16, 1
	s_delay_alu instid0(VALU_DEP_1)
	v_add3_u32 v38, v10, v35, 0x7fff
                                        ; implicit-def: $vgpr10
; %bb.42:                               ;   in Loop: Header=BB58_6 Depth=1
	s_and_not1_saveexec_b32 s4, s4
; %bb.43:                               ;   in Loop: Header=BB58_6 Depth=1
	v_and_b32_e32 v35, 0xffff, v10
	v_or_b32_e32 v38, 0x10000, v10
	s_delay_alu instid0(VALU_DEP_2) | instskip(NEXT) | instid1(VALU_DEP_2)
	v_cmp_eq_u32_e32 vcc_lo, 0, v35
	v_cndmask_b32_e32 v38, v38, v10, vcc_lo
; %bb.44:                               ;   in Loop: Header=BB58_6 Depth=1
	s_or_b32 exec_lo, exec_lo, s4
	v_lshrrev_b32_e32 v35, 16, v8
	s_and_not1_b32 vcc_lo, exec_lo, s6
	s_delay_alu instid0(VALU_DEP_1)
	v_lshlrev_b32_e32 v39, 16, v35
	s_cbranch_vccnz .LBB58_50
; %bb.45:                               ;   in Loop: Header=BB58_6 Depth=1
	v_and_b32_e32 v10, 0xffff0000, v38
	s_delay_alu instid0(VALU_DEP_1) | instskip(NEXT) | instid1(VALU_DEP_1)
	v_fmac_f32_e32 v10, s13, v39
	v_and_b32_e32 v38, 0x7f800000, v10
	s_delay_alu instid0(VALU_DEP_1) | instskip(SKIP_1) | instid1(SALU_CYCLE_1)
	v_cmp_ne_u32_e32 vcc_lo, 0x7f800000, v38
                                        ; implicit-def: $vgpr38
	s_and_saveexec_b32 s4, vcc_lo
	s_xor_b32 s4, exec_lo, s4
; %bb.46:                               ;   in Loop: Header=BB58_6 Depth=1
	v_bfe_u32 v38, v10, 16, 1
	s_delay_alu instid0(VALU_DEP_1)
	v_add3_u32 v38, v10, v38, 0x7fff
                                        ; implicit-def: $vgpr10
; %bb.47:                               ;   in Loop: Header=BB58_6 Depth=1
	s_and_not1_saveexec_b32 s4, s4
; %bb.48:                               ;   in Loop: Header=BB58_6 Depth=1
	v_and_b32_e32 v38, 0xffff, v10
	v_or_b32_e32 v40, 0x10000, v10
	s_delay_alu instid0(VALU_DEP_2) | instskip(NEXT) | instid1(VALU_DEP_2)
	v_cmp_eq_u32_e32 vcc_lo, 0, v38
	v_cndmask_b32_e32 v38, v40, v10, vcc_lo
; %bb.49:                               ;   in Loop: Header=BB58_6 Depth=1
	s_or_b32 exec_lo, exec_lo, s4
.LBB58_50:                              ;   in Loop: Header=BB58_6 Depth=1
	v_lshlrev_b32_e32 v10, 16, v11
	s_delay_alu instid0(VALU_DEP_1) | instskip(NEXT) | instid1(VALU_DEP_1)
	v_mul_f32_e32 v10, s21, v10
	v_and_b32_e32 v40, 0x7f800000, v10
	s_delay_alu instid0(VALU_DEP_1) | instskip(SKIP_1) | instid1(SALU_CYCLE_1)
	v_cmp_ne_u32_e32 vcc_lo, 0x7f800000, v40
                                        ; implicit-def: $vgpr40
	s_and_saveexec_b32 s4, vcc_lo
	s_xor_b32 s4, exec_lo, s4
	s_cbranch_execnz .LBB58_53
; %bb.51:                               ;   in Loop: Header=BB58_6 Depth=1
	s_and_not1_saveexec_b32 s4, s4
	s_cbranch_execnz .LBB58_54
.LBB58_52:                              ;   in Loop: Header=BB58_6 Depth=1
	s_or_b32 exec_lo, exec_lo, s4
	v_lshlrev_b32_e32 v41, 16, v9
	s_and_not1_b32 vcc_lo, exec_lo, s6
	s_cbranch_vccz .LBB58_55
	s_branch .LBB58_60
.LBB58_53:                              ;   in Loop: Header=BB58_6 Depth=1
	v_bfe_u32 v40, v10, 16, 1
	s_delay_alu instid0(VALU_DEP_1)
	v_add3_u32 v40, v10, v40, 0x7fff
                                        ; implicit-def: $vgpr10
	s_and_not1_saveexec_b32 s4, s4
	s_cbranch_execz .LBB58_52
.LBB58_54:                              ;   in Loop: Header=BB58_6 Depth=1
	v_and_b32_e32 v40, 0xffff, v10
	v_or_b32_e32 v41, 0x10000, v10
	s_delay_alu instid0(VALU_DEP_2) | instskip(NEXT) | instid1(VALU_DEP_2)
	v_cmp_eq_u32_e32 vcc_lo, 0, v40
	v_cndmask_b32_e32 v40, v41, v10, vcc_lo
	s_or_b32 exec_lo, exec_lo, s4
	v_lshlrev_b32_e32 v41, 16, v9
	s_and_not1_b32 vcc_lo, exec_lo, s6
	s_cbranch_vccnz .LBB58_60
.LBB58_55:                              ;   in Loop: Header=BB58_6 Depth=1
	v_and_b32_e32 v10, 0xffff0000, v40
	s_delay_alu instid0(VALU_DEP_1) | instskip(NEXT) | instid1(VALU_DEP_1)
	v_fmac_f32_e32 v10, s13, v41
	v_and_b32_e32 v40, 0x7f800000, v10
	s_delay_alu instid0(VALU_DEP_1) | instskip(SKIP_1) | instid1(SALU_CYCLE_1)
	v_cmp_ne_u32_e32 vcc_lo, 0x7f800000, v40
                                        ; implicit-def: $vgpr40
	s_and_saveexec_b32 s4, vcc_lo
	s_xor_b32 s4, exec_lo, s4
; %bb.56:                               ;   in Loop: Header=BB58_6 Depth=1
	v_bfe_u32 v40, v10, 16, 1
	s_delay_alu instid0(VALU_DEP_1)
	v_add3_u32 v40, v10, v40, 0x7fff
                                        ; implicit-def: $vgpr10
; %bb.57:                               ;   in Loop: Header=BB58_6 Depth=1
	s_and_not1_saveexec_b32 s4, s4
; %bb.58:                               ;   in Loop: Header=BB58_6 Depth=1
	v_and_b32_e32 v40, 0xffff, v10
	v_or_b32_e32 v42, 0x10000, v10
	s_delay_alu instid0(VALU_DEP_2) | instskip(NEXT) | instid1(VALU_DEP_2)
	v_cmp_eq_u32_e32 vcc_lo, 0, v40
	v_cndmask_b32_e32 v40, v42, v10, vcc_lo
; %bb.59:                               ;   in Loop: Header=BB58_6 Depth=1
	s_or_b32 exec_lo, exec_lo, s4
.LBB58_60:                              ;   in Loop: Header=BB58_6 Depth=1
	v_and_b32_e32 v10, 0xffff0000, v11
	s_mov_b32 s4, exec_lo
                                        ; implicit-def: $vgpr43
	s_delay_alu instid0(VALU_DEP_1) | instskip(NEXT) | instid1(VALU_DEP_1)
	v_mul_f32_e32 v10, s21, v10
	v_and_b32_e32 v11, 0x7f800000, v10
	s_delay_alu instid0(VALU_DEP_1)
	v_cmpx_ne_u32_e32 0x7f800000, v11
	s_xor_b32 s4, exec_lo, s4
; %bb.61:                               ;   in Loop: Header=BB58_6 Depth=1
	v_bfe_u32 v11, v10, 16, 1
	s_delay_alu instid0(VALU_DEP_1)
	v_add3_u32 v43, v10, v11, 0x7fff
                                        ; implicit-def: $vgpr10
; %bb.62:                               ;   in Loop: Header=BB58_6 Depth=1
	s_and_not1_saveexec_b32 s4, s4
; %bb.63:                               ;   in Loop: Header=BB58_6 Depth=1
	v_and_b32_e32 v11, 0xffff, v10
	v_or_b32_e32 v42, 0x10000, v10
	s_delay_alu instid0(VALU_DEP_2) | instskip(NEXT) | instid1(VALU_DEP_2)
	v_cmp_eq_u32_e32 vcc_lo, 0, v11
	v_cndmask_b32_e32 v43, v42, v10, vcc_lo
; %bb.64:                               ;   in Loop: Header=BB58_6 Depth=1
	s_or_b32 exec_lo, exec_lo, s4
	v_lshrrev_b32_e32 v42, 16, v9
	s_and_not1_b32 vcc_lo, exec_lo, s6
	s_delay_alu instid0(VALU_DEP_1)
	v_lshlrev_b32_e32 v44, 16, v42
	s_cbranch_vccnz .LBB58_70
; %bb.65:                               ;   in Loop: Header=BB58_6 Depth=1
	v_and_b32_e32 v10, 0xffff0000, v43
	s_mov_b32 s4, exec_lo
                                        ; implicit-def: $vgpr43
	s_delay_alu instid0(VALU_DEP_1) | instskip(NEXT) | instid1(VALU_DEP_1)
	v_fmac_f32_e32 v10, s13, v44
	v_and_b32_e32 v11, 0x7f800000, v10
	s_delay_alu instid0(VALU_DEP_1)
	v_cmpx_ne_u32_e32 0x7f800000, v11
	s_xor_b32 s4, exec_lo, s4
; %bb.66:                               ;   in Loop: Header=BB58_6 Depth=1
	v_bfe_u32 v11, v10, 16, 1
	s_delay_alu instid0(VALU_DEP_1)
	v_add3_u32 v43, v10, v11, 0x7fff
                                        ; implicit-def: $vgpr10
; %bb.67:                               ;   in Loop: Header=BB58_6 Depth=1
	s_and_not1_saveexec_b32 s4, s4
; %bb.68:                               ;   in Loop: Header=BB58_6 Depth=1
	v_and_b32_e32 v11, 0xffff, v10
	v_or_b32_e32 v43, 0x10000, v10
	s_delay_alu instid0(VALU_DEP_2) | instskip(NEXT) | instid1(VALU_DEP_2)
	v_cmp_eq_u32_e32 vcc_lo, 0, v11
	v_cndmask_b32_e32 v43, v43, v10, vcc_lo
; %bb.69:                               ;   in Loop: Header=BB58_6 Depth=1
	s_or_b32 exec_lo, exec_lo, s4
.LBB58_70:                              ;   in Loop: Header=BB58_6 Depth=1
	v_lshrrev_b32_e32 v10, 16, v36
	s_delay_alu instid0(VALU_DEP_1) | instskip(NEXT) | instid1(VALU_DEP_1)
	v_and_b32_e32 v11, 0x7fff, v10
	v_cmp_ne_u16_e32 vcc_lo, 0, v11
	s_or_b32 s5, s9, vcc_lo
	s_delay_alu instid0(SALU_CYCLE_1)
	s_and_saveexec_b32 s4, s5
	s_cbranch_execz .LBB58_76
; %bb.71:                               ;   in Loop: Header=BB58_6 Depth=1
	v_and_b32_e32 v8, 0xffff0000, v36
	s_delay_alu instid0(VALU_DEP_1) | instskip(NEXT) | instid1(VALU_DEP_1)
	v_mul_f32_e32 v11, v33, v8
	v_fmac_f32_e32 v11, s18, v2
	s_delay_alu instid0(VALU_DEP_1) | instskip(SKIP_2) | instid1(VALU_DEP_2)
	v_cmp_lt_f32_e32 vcc_lo, 0, v11
	v_cndmask_b32_e64 v36, 0, 1, vcc_lo
	v_cmp_gt_f32_e32 vcc_lo, 0, v11
	v_subrev_co_ci_u32_e32 v11, vcc_lo, 0, v36, vcc_lo
	s_delay_alu instid0(VALU_DEP_1) | instskip(NEXT) | instid1(VALU_DEP_1)
	v_cvt_f32_i32_e32 v11, v11
	v_mul_f32_e32 v11, s20, v11
	s_delay_alu instid0(VALU_DEP_1) | instskip(NEXT) | instid1(VALU_DEP_1)
	v_fma_f32 v36, -v12, v11, v37
	v_and_b32_e32 v11, 0x7f800000, v36
	s_delay_alu instid0(VALU_DEP_1) | instskip(SKIP_1) | instid1(SALU_CYCLE_1)
	v_cmp_ne_u32_e32 vcc_lo, 0x7f800000, v11
                                        ; implicit-def: $vgpr11
	s_and_saveexec_b32 s5, vcc_lo
	s_xor_b32 s5, exec_lo, s5
; %bb.72:                               ;   in Loop: Header=BB58_6 Depth=1
	v_bfe_u32 v11, v36, 16, 1
	s_delay_alu instid0(VALU_DEP_1)
	v_add3_u32 v11, v36, v11, 0x7fff
                                        ; implicit-def: $vgpr36
; %bb.73:                               ;   in Loop: Header=BB58_6 Depth=1
	s_and_not1_saveexec_b32 s5, s5
; %bb.74:                               ;   in Loop: Header=BB58_6 Depth=1
	v_and_b32_e32 v11, 0xffff, v36
	v_or_b32_e32 v37, 0x10000, v36
	s_delay_alu instid0(VALU_DEP_2) | instskip(NEXT) | instid1(VALU_DEP_2)
	v_cmp_eq_u32_e32 vcc_lo, 0, v11
	v_cndmask_b32_e32 v11, v37, v36, vcc_lo
; %bb.75:                               ;   in Loop: Header=BB58_6 Depth=1
	s_or_b32 exec_lo, exec_lo, s5
	v_mul_f32_e32 v36, v34, v8
	s_delay_alu instid0(VALU_DEP_2) | instskip(NEXT) | instid1(VALU_DEP_2)
	v_lshrrev_b32_e32 v8, 16, v11
	v_fmac_f32_e32 v36, s19, v2
	s_delay_alu instid0(VALU_DEP_1)
	v_mov_b32_e32 v2, v36
.LBB58_76:                              ;   in Loop: Header=BB58_6 Depth=1
	s_or_b32 exec_lo, exec_lo, s4
	v_lshrrev_b32_e32 v11, 16, v38
	s_delay_alu instid0(VALU_DEP_1) | instskip(NEXT) | instid1(VALU_DEP_1)
	v_and_b32_e32 v36, 0x7fff, v11
	v_cmp_ne_u16_e32 vcc_lo, 0, v36
	s_or_b32 s5, s9, vcc_lo
	s_delay_alu instid0(SALU_CYCLE_1)
	s_and_saveexec_b32 s4, s5
	s_cbranch_execz .LBB58_82
; %bb.77:                               ;   in Loop: Header=BB58_6 Depth=1
	v_and_b32_e32 v35, 0xffff0000, v38
	s_delay_alu instid0(VALU_DEP_1) | instskip(NEXT) | instid1(VALU_DEP_1)
	v_mul_f32_e32 v36, v33, v35
	v_fmac_f32_e32 v36, s18, v3
	s_delay_alu instid0(VALU_DEP_1) | instskip(SKIP_2) | instid1(VALU_DEP_2)
	v_cmp_lt_f32_e32 vcc_lo, 0, v36
	v_cndmask_b32_e64 v37, 0, 1, vcc_lo
	v_cmp_gt_f32_e32 vcc_lo, 0, v36
	v_subrev_co_ci_u32_e32 v36, vcc_lo, 0, v37, vcc_lo
	s_delay_alu instid0(VALU_DEP_1) | instskip(NEXT) | instid1(VALU_DEP_1)
	v_cvt_f32_i32_e32 v36, v36
	v_mul_f32_e32 v36, s20, v36
	s_delay_alu instid0(VALU_DEP_1) | instskip(NEXT) | instid1(VALU_DEP_1)
	v_fma_f32 v37, -v12, v36, v39
	v_and_b32_e32 v36, 0x7f800000, v37
	s_delay_alu instid0(VALU_DEP_1) | instskip(SKIP_1) | instid1(SALU_CYCLE_1)
	v_cmp_ne_u32_e32 vcc_lo, 0x7f800000, v36
                                        ; implicit-def: $vgpr36
	s_and_saveexec_b32 s5, vcc_lo
	s_xor_b32 s5, exec_lo, s5
; %bb.78:                               ;   in Loop: Header=BB58_6 Depth=1
	v_bfe_u32 v36, v37, 16, 1
	s_delay_alu instid0(VALU_DEP_1)
	v_add3_u32 v36, v37, v36, 0x7fff
                                        ; implicit-def: $vgpr37
; %bb.79:                               ;   in Loop: Header=BB58_6 Depth=1
	s_and_not1_saveexec_b32 s5, s5
; %bb.80:                               ;   in Loop: Header=BB58_6 Depth=1
	v_and_b32_e32 v36, 0xffff, v37
	v_or_b32_e32 v38, 0x10000, v37
	s_delay_alu instid0(VALU_DEP_2) | instskip(NEXT) | instid1(VALU_DEP_2)
	v_cmp_eq_u32_e32 vcc_lo, 0, v36
	v_cndmask_b32_e32 v36, v38, v37, vcc_lo
; %bb.81:                               ;   in Loop: Header=BB58_6 Depth=1
	s_or_b32 exec_lo, exec_lo, s5
	v_mul_f32_e32 v37, v34, v35
	s_delay_alu instid0(VALU_DEP_2) | instskip(NEXT) | instid1(VALU_DEP_2)
	v_lshrrev_b32_e32 v35, 16, v36
	v_fmac_f32_e32 v37, s19, v3
	s_delay_alu instid0(VALU_DEP_1)
	v_mov_b32_e32 v3, v37
.LBB58_82:                              ;   in Loop: Header=BB58_6 Depth=1
	s_or_b32 exec_lo, exec_lo, s4
	v_lshrrev_b32_e32 v36, 16, v40
	s_delay_alu instid0(VALU_DEP_1) | instskip(NEXT) | instid1(VALU_DEP_1)
	v_and_b32_e32 v37, 0x7fff, v36
	v_cmp_ne_u16_e32 vcc_lo, 0, v37
	s_or_b32 s5, s9, vcc_lo
	s_delay_alu instid0(SALU_CYCLE_1)
	s_and_saveexec_b32 s4, s5
	s_cbranch_execz .LBB58_88
; %bb.83:                               ;   in Loop: Header=BB58_6 Depth=1
	v_and_b32_e32 v9, 0xffff0000, v40
	s_delay_alu instid0(VALU_DEP_1) | instskip(NEXT) | instid1(VALU_DEP_1)
	v_mul_f32_e32 v37, v33, v9
	v_fmac_f32_e32 v37, s18, v0
	s_delay_alu instid0(VALU_DEP_1) | instskip(SKIP_2) | instid1(VALU_DEP_2)
	v_cmp_lt_f32_e32 vcc_lo, 0, v37
	v_cndmask_b32_e64 v38, 0, 1, vcc_lo
	v_cmp_gt_f32_e32 vcc_lo, 0, v37
	v_subrev_co_ci_u32_e32 v37, vcc_lo, 0, v38, vcc_lo
	s_delay_alu instid0(VALU_DEP_1) | instskip(NEXT) | instid1(VALU_DEP_1)
	v_cvt_f32_i32_e32 v37, v37
	v_mul_f32_e32 v37, s20, v37
	s_delay_alu instid0(VALU_DEP_1) | instskip(NEXT) | instid1(VALU_DEP_1)
	v_fma_f32 v38, -v12, v37, v41
	v_and_b32_e32 v37, 0x7f800000, v38
	s_delay_alu instid0(VALU_DEP_1) | instskip(SKIP_1) | instid1(SALU_CYCLE_1)
	v_cmp_ne_u32_e32 vcc_lo, 0x7f800000, v37
                                        ; implicit-def: $vgpr37
	s_and_saveexec_b32 s5, vcc_lo
	s_xor_b32 s5, exec_lo, s5
; %bb.84:                               ;   in Loop: Header=BB58_6 Depth=1
	v_bfe_u32 v37, v38, 16, 1
	s_delay_alu instid0(VALU_DEP_1)
	v_add3_u32 v37, v38, v37, 0x7fff
                                        ; implicit-def: $vgpr38
; %bb.85:                               ;   in Loop: Header=BB58_6 Depth=1
	s_and_not1_saveexec_b32 s5, s5
; %bb.86:                               ;   in Loop: Header=BB58_6 Depth=1
	v_and_b32_e32 v37, 0xffff, v38
	v_or_b32_e32 v39, 0x10000, v38
	s_delay_alu instid0(VALU_DEP_2) | instskip(NEXT) | instid1(VALU_DEP_2)
	v_cmp_eq_u32_e32 vcc_lo, 0, v37
	v_cndmask_b32_e32 v37, v39, v38, vcc_lo
; %bb.87:                               ;   in Loop: Header=BB58_6 Depth=1
	s_or_b32 exec_lo, exec_lo, s5
	v_mul_f32_e32 v38, v34, v9
	s_delay_alu instid0(VALU_DEP_2) | instskip(NEXT) | instid1(VALU_DEP_2)
	v_lshrrev_b32_e32 v9, 16, v37
	v_fmac_f32_e32 v38, s19, v0
	s_delay_alu instid0(VALU_DEP_1)
	v_mov_b32_e32 v0, v38
.LBB58_88:                              ;   in Loop: Header=BB58_6 Depth=1
	s_or_b32 exec_lo, exec_lo, s4
	v_lshrrev_b32_e32 v38, 16, v43
	s_delay_alu instid0(VALU_DEP_1) | instskip(NEXT) | instid1(VALU_DEP_1)
	v_and_b32_e32 v37, 0x7fff, v38
	v_cmp_ne_u16_e32 vcc_lo, 0, v37
	s_or_b32 s5, s9, vcc_lo
	s_delay_alu instid0(SALU_CYCLE_1)
	s_and_saveexec_b32 s4, s5
	s_cbranch_execz .LBB58_94
; %bb.89:                               ;   in Loop: Header=BB58_6 Depth=1
	v_and_b32_e32 v37, 0xffff0000, v43
	s_delay_alu instid0(VALU_DEP_1) | instskip(NEXT) | instid1(VALU_DEP_1)
	v_mul_f32_e32 v39, v33, v37
	v_fmac_f32_e32 v39, s18, v1
	s_delay_alu instid0(VALU_DEP_1) | instskip(SKIP_2) | instid1(VALU_DEP_2)
	v_cmp_lt_f32_e32 vcc_lo, 0, v39
	v_cndmask_b32_e64 v40, 0, 1, vcc_lo
	v_cmp_gt_f32_e32 vcc_lo, 0, v39
	v_subrev_co_ci_u32_e32 v39, vcc_lo, 0, v40, vcc_lo
	s_delay_alu instid0(VALU_DEP_1) | instskip(NEXT) | instid1(VALU_DEP_1)
	v_cvt_f32_i32_e32 v39, v39
	v_mul_f32_e32 v39, s20, v39
	s_delay_alu instid0(VALU_DEP_1) | instskip(NEXT) | instid1(VALU_DEP_1)
	v_fma_f32 v40, -v12, v39, v44
	v_and_b32_e32 v39, 0x7f800000, v40
	s_delay_alu instid0(VALU_DEP_1) | instskip(SKIP_1) | instid1(SALU_CYCLE_1)
	v_cmp_ne_u32_e32 vcc_lo, 0x7f800000, v39
                                        ; implicit-def: $vgpr39
	s_and_saveexec_b32 s5, vcc_lo
	s_xor_b32 s5, exec_lo, s5
; %bb.90:                               ;   in Loop: Header=BB58_6 Depth=1
	v_bfe_u32 v39, v40, 16, 1
	s_delay_alu instid0(VALU_DEP_1)
	v_add3_u32 v39, v40, v39, 0x7fff
                                        ; implicit-def: $vgpr40
; %bb.91:                               ;   in Loop: Header=BB58_6 Depth=1
	s_and_not1_saveexec_b32 s5, s5
; %bb.92:                               ;   in Loop: Header=BB58_6 Depth=1
	v_and_b32_e32 v39, 0xffff, v40
	v_or_b32_e32 v41, 0x10000, v40
	s_delay_alu instid0(VALU_DEP_2) | instskip(NEXT) | instid1(VALU_DEP_2)
	v_cmp_eq_u32_e32 vcc_lo, 0, v39
	v_cndmask_b32_e32 v39, v41, v40, vcc_lo
; %bb.93:                               ;   in Loop: Header=BB58_6 Depth=1
	s_or_b32 exec_lo, exec_lo, s5
	v_mul_f32_e32 v37, v34, v37
	s_delay_alu instid0(VALU_DEP_2) | instskip(NEXT) | instid1(VALU_DEP_2)
	v_lshrrev_b32_e32 v42, 16, v39
	v_fmac_f32_e32 v37, s19, v1
	s_delay_alu instid0(VALU_DEP_1)
	v_mov_b32_e32 v1, v37
.LBB58_94:                              ;   in Loop: Header=BB58_6 Depth=1
	s_or_b32 exec_lo, exec_lo, s4
	s_delay_alu instid0(VALU_DEP_3)
	v_perm_b32 v9, v42, v9, 0x5040100
	v_perm_b32 v8, v35, v8, 0x5040100
	s_barrier
	buffer_gl0_inv
	ds_store_b64 v23, v[8:9]
	; wave barrier
	ds_load_u16 v37, v19
	ds_load_u16 v35, v20
	;; [unrolled: 1-line block ×4, first 2 shown]
	s_and_saveexec_b32 s4, s0
	s_delay_alu instid0(SALU_CYCLE_1)
	s_xor_b32 s4, exec_lo, s4
	s_cbranch_execnz .LBB58_103
; %bb.95:                               ;   in Loop: Header=BB58_6 Depth=1
	s_or_b32 exec_lo, exec_lo, s4
	s_and_saveexec_b32 s4, s1
	s_cbranch_execnz .LBB58_104
.LBB58_96:                              ;   in Loop: Header=BB58_6 Depth=1
	s_or_b32 exec_lo, exec_lo, s4
	s_and_saveexec_b32 s4, s2
	s_cbranch_execnz .LBB58_105
.LBB58_97:                              ;   in Loop: Header=BB58_6 Depth=1
	s_or_b32 exec_lo, exec_lo, s4
	s_and_saveexec_b32 s4, s3
	s_cbranch_execz .LBB58_99
.LBB58_98:                              ;   in Loop: Header=BB58_6 Depth=1
	s_waitcnt lgkmcnt(0)
	global_store_b16 v[6:7], v8, off offset:192
.LBB58_99:                              ;   in Loop: Header=BB58_6 Depth=1
	s_or_b32 exec_lo, exec_lo, s4
	s_waitcnt lgkmcnt(0)
	s_waitcnt_vscnt null, 0x0
	s_barrier
	buffer_gl0_inv
	ds_store_2addr_b32 v30, v2, v3 offset1:1
	ds_store_2addr_b32 v30, v0, v1 offset0:2 offset1:3
	; wave barrier
	ds_load_b32 v0, v26
	ds_load_b32 v1, v27
	;; [unrolled: 1-line block ×4, first 2 shown]
	s_and_saveexec_b32 s4, s0
	s_cbranch_execnz .LBB58_106
; %bb.100:                              ;   in Loop: Header=BB58_6 Depth=1
	s_or_b32 exec_lo, exec_lo, s4
	s_and_saveexec_b32 s0, s1
	s_cbranch_execnz .LBB58_107
.LBB58_101:                             ;   in Loop: Header=BB58_6 Depth=1
	s_or_b32 exec_lo, exec_lo, s0
	s_and_saveexec_b32 s0, s2
	s_cbranch_execnz .LBB58_108
.LBB58_102:                             ;   in Loop: Header=BB58_6 Depth=1
	s_or_b32 exec_lo, exec_lo, s0
	s_and_saveexec_b32 s0, s3
	s_cbranch_execz .LBB58_5
	s_branch .LBB58_109
.LBB58_103:                             ;   in Loop: Header=BB58_6 Depth=1
	s_waitcnt lgkmcnt(3)
	global_store_b16 v[6:7], v37, off
	s_or_b32 exec_lo, exec_lo, s4
	s_and_saveexec_b32 s4, s1
	s_cbranch_execz .LBB58_96
.LBB58_104:                             ;   in Loop: Header=BB58_6 Depth=1
	s_waitcnt lgkmcnt(2)
	global_store_b16 v[6:7], v35, off offset:64
	s_or_b32 exec_lo, exec_lo, s4
	s_and_saveexec_b32 s4, s2
	s_cbranch_execz .LBB58_97
.LBB58_105:                             ;   in Loop: Header=BB58_6 Depth=1
	s_waitcnt lgkmcnt(1)
	global_store_b16 v[6:7], v9, off offset:128
	s_or_b32 exec_lo, exec_lo, s4
	s_and_saveexec_b32 s4, s3
	s_cbranch_execnz .LBB58_98
	s_branch .LBB58_99
.LBB58_106:                             ;   in Loop: Header=BB58_6 Depth=1
	s_waitcnt lgkmcnt(3)
	global_store_b32 v[4:5], v0, off
	s_or_b32 exec_lo, exec_lo, s4
	s_and_saveexec_b32 s0, s1
	s_cbranch_execz .LBB58_101
.LBB58_107:                             ;   in Loop: Header=BB58_6 Depth=1
	s_waitcnt lgkmcnt(2)
	global_store_b32 v[4:5], v1, off offset:128
	s_or_b32 exec_lo, exec_lo, s0
	s_and_saveexec_b32 s0, s2
	s_cbranch_execz .LBB58_102
.LBB58_108:                             ;   in Loop: Header=BB58_6 Depth=1
	s_waitcnt lgkmcnt(1)
	global_store_b32 v[4:5], v2, off offset:256
	s_or_b32 exec_lo, exec_lo, s0
	s_and_saveexec_b32 s0, s3
	s_cbranch_execz .LBB58_5
.LBB58_109:                             ;   in Loop: Header=BB58_6 Depth=1
	s_waitcnt lgkmcnt(0)
	global_store_b32 v[4:5], v3, off offset:384
	s_branch .LBB58_5
.LBB58_110:
	s_nop 0
	s_sendmsg sendmsg(MSG_DEALLOC_VGPRS)
	s_endpgm
	.section	.rodata,"a",@progbits
	.p2align	6, 0x0
	.amdhsa_kernel _Z21kOptimizer32bit1StateI12hip_bfloat16Li5EEvPT_S2_PfS3_ffffffiffbi
		.amdhsa_group_segment_fixed_size 16896
		.amdhsa_private_segment_fixed_size 0
		.amdhsa_kernarg_size 336
		.amdhsa_user_sgpr_count 15
		.amdhsa_user_sgpr_dispatch_ptr 0
		.amdhsa_user_sgpr_queue_ptr 0
		.amdhsa_user_sgpr_kernarg_segment_ptr 1
		.amdhsa_user_sgpr_dispatch_id 0
		.amdhsa_user_sgpr_private_segment_size 0
		.amdhsa_wavefront_size32 1
		.amdhsa_uses_dynamic_stack 0
		.amdhsa_enable_private_segment 0
		.amdhsa_system_sgpr_workgroup_id_x 1
		.amdhsa_system_sgpr_workgroup_id_y 0
		.amdhsa_system_sgpr_workgroup_id_z 0
		.amdhsa_system_sgpr_workgroup_info 0
		.amdhsa_system_vgpr_workitem_id 0
		.amdhsa_next_free_vgpr 45
		.amdhsa_next_free_sgpr 24
		.amdhsa_reserve_vcc 1
		.amdhsa_float_round_mode_32 0
		.amdhsa_float_round_mode_16_64 0
		.amdhsa_float_denorm_mode_32 3
		.amdhsa_float_denorm_mode_16_64 3
		.amdhsa_dx10_clamp 1
		.amdhsa_ieee_mode 1
		.amdhsa_fp16_overflow 0
		.amdhsa_workgroup_processor_mode 1
		.amdhsa_memory_ordered 1
		.amdhsa_forward_progress 0
		.amdhsa_shared_vgpr_count 0
		.amdhsa_exception_fp_ieee_invalid_op 0
		.amdhsa_exception_fp_denorm_src 0
		.amdhsa_exception_fp_ieee_div_zero 0
		.amdhsa_exception_fp_ieee_overflow 0
		.amdhsa_exception_fp_ieee_underflow 0
		.amdhsa_exception_fp_ieee_inexact 0
		.amdhsa_exception_int_div_zero 0
	.end_amdhsa_kernel
	.section	.text._Z21kOptimizer32bit1StateI12hip_bfloat16Li5EEvPT_S2_PfS3_ffffffiffbi,"axG",@progbits,_Z21kOptimizer32bit1StateI12hip_bfloat16Li5EEvPT_S2_PfS3_ffffffiffbi,comdat
.Lfunc_end58:
	.size	_Z21kOptimizer32bit1StateI12hip_bfloat16Li5EEvPT_S2_PfS3_ffffffiffbi, .Lfunc_end58-_Z21kOptimizer32bit1StateI12hip_bfloat16Li5EEvPT_S2_PfS3_ffffffiffbi
                                        ; -- End function
	.section	.AMDGPU.csdata,"",@progbits
; Kernel info:
; codeLenInByte = 3784
; NumSgprs: 26
; NumVgprs: 45
; ScratchSize: 0
; MemoryBound: 0
; FloatMode: 240
; IeeeMode: 1
; LDSByteSize: 16896 bytes/workgroup (compile time only)
; SGPRBlocks: 3
; VGPRBlocks: 5
; NumSGPRsForWavesPerEU: 26
; NumVGPRsForWavesPerEU: 45
; Occupancy: 16
; WaveLimiterHint : 0
; COMPUTE_PGM_RSRC2:SCRATCH_EN: 0
; COMPUTE_PGM_RSRC2:USER_SGPR: 15
; COMPUTE_PGM_RSRC2:TRAP_HANDLER: 0
; COMPUTE_PGM_RSRC2:TGID_X_EN: 1
; COMPUTE_PGM_RSRC2:TGID_Y_EN: 0
; COMPUTE_PGM_RSRC2:TGID_Z_EN: 0
; COMPUTE_PGM_RSRC2:TIDIG_COMP_CNT: 0
	.section	.text._Z21kOptimizer32bit1StateI6__halfLi4EEvPT_S2_PfS3_ffffffiffbi,"axG",@progbits,_Z21kOptimizer32bit1StateI6__halfLi4EEvPT_S2_PfS3_ffffffiffbi,comdat
